;; amdgpu-corpus repo=ROCm/rocFFT kind=compiled arch=gfx1201 opt=O3
	.text
	.amdgcn_target "amdgcn-amd-amdhsa--gfx1201"
	.amdhsa_code_object_version 6
	.protected	fft_rtc_fwd_len121_factors_11_11_wgs_121_tpt_11_half_ip_CI_sbcc_twdbase8_3step_dirReg ; -- Begin function fft_rtc_fwd_len121_factors_11_11_wgs_121_tpt_11_half_ip_CI_sbcc_twdbase8_3step_dirReg
	.globl	fft_rtc_fwd_len121_factors_11_11_wgs_121_tpt_11_half_ip_CI_sbcc_twdbase8_3step_dirReg
	.p2align	8
	.type	fft_rtc_fwd_len121_factors_11_11_wgs_121_tpt_11_half_ip_CI_sbcc_twdbase8_3step_dirReg,@function
fft_rtc_fwd_len121_factors_11_11_wgs_121_tpt_11_half_ip_CI_sbcc_twdbase8_3step_dirReg: ; @fft_rtc_fwd_len121_factors_11_11_wgs_121_tpt_11_half_ip_CI_sbcc_twdbase8_3step_dirReg
; %bb.0:
	s_load_b128 s[12:15], s[0:1], 0x18
	s_mov_b32 s19, 0
	s_mov_b32 s2, 0x5d161400
	s_movk_i32 s3, 0x54
	s_mov_b32 s18, s19
	s_mov_b64 s[26:27], 0
	s_add_nc_u64 s[4:5], s[18:19], s[2:3]
	s_delay_alu instid0(SALU_CYCLE_1) | instskip(NEXT) | instid1(SALU_CYCLE_1)
	s_add_co_i32 s5, s5, 0x1745d120
	s_mul_u64 s[6:7], s[4:5], -11
	s_delay_alu instid0(SALU_CYCLE_1)
	s_mul_hi_u32 s9, s4, s7
	s_mul_i32 s8, s4, s7
	s_mul_hi_u32 s18, s4, s6
	s_mul_i32 s11, s5, s6
	s_add_nc_u64 s[8:9], s[18:19], s[8:9]
	s_mul_hi_u32 s10, s5, s6
	s_mul_hi_u32 s16, s5, s7
	s_mul_i32 s6, s5, s7
	s_wait_kmcnt 0x0
	s_load_b64 s[2:3], s[12:13], 0x8
	s_add_co_u32 s7, s8, s11
	s_add_co_ci_u32 s18, s9, s10
	s_add_co_ci_u32 s7, s16, 0
	s_delay_alu instid0(SALU_CYCLE_1) | instskip(NEXT) | instid1(SALU_CYCLE_1)
	s_add_nc_u64 s[6:7], s[18:19], s[6:7]
	v_add_co_u32 v1, s4, s4, s6
	s_delay_alu instid0(VALU_DEP_1) | instskip(SKIP_1) | instid1(VALU_DEP_1)
	s_cmp_lg_u32 s4, 0
	s_add_co_ci_u32 s8, s5, s7
	v_readfirstlane_b32 s9, v1
	s_wait_kmcnt 0x0
	s_add_nc_u64 s[4:5], s[2:3], -1
	s_wait_alu 0xfffe
	s_mul_hi_u32 s7, s4, s8
	s_mul_i32 s6, s4, s8
	s_mul_hi_u32 s18, s4, s9
	s_mul_hi_u32 s11, s5, s9
	s_mul_i32 s9, s5, s9
	s_wait_alu 0xfffe
	s_add_nc_u64 s[6:7], s[18:19], s[6:7]
	s_mul_hi_u32 s10, s5, s8
	s_wait_alu 0xfffe
	s_add_co_u32 s6, s6, s9
	s_add_co_ci_u32 s18, s7, s11
	s_mul_i32 s8, s5, s8
	s_add_co_ci_u32 s9, s10, 0
	s_delay_alu instid0(SALU_CYCLE_1) | instskip(SKIP_3) | instid1(SALU_CYCLE_1)
	s_add_nc_u64 s[6:7], s[18:19], s[8:9]
	s_mov_b32 s18, ttmp9
	s_wait_alu 0xfffe
	s_mul_u64 s[8:9], s[6:7], 11
	v_sub_co_u32 v1, s4, s4, s8
	s_delay_alu instid0(VALU_DEP_1) | instskip(SKIP_1) | instid1(VALU_DEP_1)
	s_cmp_lg_u32 s4, 0
	s_sub_co_ci_u32 s10, s5, s9
	v_sub_co_u32 v2, s8, v1, 11
	s_delay_alu instid0(VALU_DEP_1) | instskip(SKIP_2) | instid1(VALU_DEP_2)
	s_cmp_lg_u32 s8, 0
	v_readfirstlane_b32 s16, v1
	s_sub_co_ci_u32 s8, s10, 0
	v_readfirstlane_b32 s4, v2
	s_delay_alu instid0(VALU_DEP_1)
	s_cmp_gt_u32 s4, 10
	s_add_nc_u64 s[4:5], s[6:7], 1
	s_cselect_b32 s11, -1, 0
	s_wait_alu 0xfffe
	s_cmp_eq_u32 s8, 0
	s_add_nc_u64 s[8:9], s[6:7], 2
	s_cselect_b32 s11, s11, -1
	s_delay_alu instid0(SALU_CYCLE_1)
	s_cmp_lg_u32 s11, 0
	s_wait_alu 0xfffe
	s_cselect_b32 s4, s8, s4
	s_cselect_b32 s5, s9, s5
	s_cmp_gt_u32 s16, 10
	s_cselect_b32 s8, -1, 0
	s_cmp_eq_u32 s10, 0
	s_wait_alu 0xfffe
	s_cselect_b32 s8, s8, -1
	s_wait_alu 0xfffe
	s_cmp_lg_u32 s8, 0
	s_cselect_b32 s5, s5, s7
	s_cselect_b32 s4, s4, s6
	s_wait_alu 0xfffe
	s_add_nc_u64 s[20:21], s[4:5], 1
	s_delay_alu instid0(SALU_CYCLE_1) | instskip(NEXT) | instid1(VALU_DEP_1)
	v_cmp_lt_u64_e64 s4, s[18:19], s[20:21]
	s_and_b32 vcc_lo, exec_lo, s4
	s_cbranch_vccnz .LBB0_2
; %bb.1:
	v_cvt_f32_u32_e32 v1, s20
	s_sub_co_i32 s5, 0, s20
	s_mov_b32 s27, s19
	s_delay_alu instid0(VALU_DEP_1) | instskip(NEXT) | instid1(TRANS32_DEP_1)
	v_rcp_iflag_f32_e32 v1, v1
	v_mul_f32_e32 v1, 0x4f7ffffe, v1
	s_delay_alu instid0(VALU_DEP_1) | instskip(NEXT) | instid1(VALU_DEP_1)
	v_cvt_u32_f32_e32 v1, v1
	v_readfirstlane_b32 s4, v1
	s_wait_alu 0xfffe
	s_delay_alu instid0(VALU_DEP_1)
	s_mul_i32 s5, s5, s4
	s_wait_alu 0xfffe
	s_mul_hi_u32 s5, s4, s5
	s_wait_alu 0xfffe
	s_add_co_i32 s4, s4, s5
	s_wait_alu 0xfffe
	s_mul_hi_u32 s4, s18, s4
	s_wait_alu 0xfffe
	s_mul_i32 s5, s4, s20
	s_add_co_i32 s6, s4, 1
	s_wait_alu 0xfffe
	s_sub_co_i32 s5, s18, s5
	s_wait_alu 0xfffe
	s_sub_co_i32 s7, s5, s20
	s_cmp_ge_u32 s5, s20
	s_cselect_b32 s4, s6, s4
	s_wait_alu 0xfffe
	s_cselect_b32 s5, s7, s5
	s_add_co_i32 s6, s4, 1
	s_wait_alu 0xfffe
	s_cmp_ge_u32 s5, s20
	s_cselect_b32 s26, s6, s4
.LBB0_2:
	s_load_b128 s[8:11], s[0:1], 0x8
	s_load_b128 s[4:7], s[14:15], 0x0
	s_load_b64 s[16:17], s[0:1], 0x0
	s_mul_u64 s[22:23], s[26:27], s[20:21]
	s_delay_alu instid0(SALU_CYCLE_1) | instskip(NEXT) | instid1(SALU_CYCLE_1)
	s_sub_nc_u64 s[22:23], s[18:19], s[22:23]
	s_mul_u64 s[24:25], s[22:23], 11
	s_wait_kmcnt 0x0
	v_cmp_lt_u64_e64 s28, s[10:11], 3
	s_mul_u64 s[22:23], s[6:7], s[24:25]
	s_delay_alu instid0(VALU_DEP_1)
	s_and_b32 vcc_lo, exec_lo, s28
	s_cbranch_vccnz .LBB0_12
; %bb.3:
	s_add_nc_u64 s[28:29], s[14:15], 16
	s_add_nc_u64 s[12:13], s[12:13], 16
	s_mov_b64 s[30:31], 2
	s_mov_b32 s34, 0
.LBB0_4:                                ; =>This Inner Loop Header: Depth=1
	s_load_b64 s[36:37], s[12:13], 0x0
                                        ; implicit-def: $sgpr40_sgpr41
	s_wait_kmcnt 0x0
	s_or_b64 s[38:39], s[26:27], s[36:37]
	s_delay_alu instid0(SALU_CYCLE_1)
	s_mov_b32 s35, s39
	s_mov_b32 s39, -1
	s_cmp_lg_u64 s[34:35], 0
	s_cbranch_scc0 .LBB0_6
; %bb.5:                                ;   in Loop: Header=BB0_4 Depth=1
	s_cvt_f32_u32 s33, s36
	s_cvt_f32_u32 s35, s37
	s_sub_nc_u64 s[42:43], 0, s[36:37]
	s_mov_b32 s39, 0
	s_mov_b32 s47, s34
	s_wait_alu 0xfffe
	s_fmamk_f32 s33, s35, 0x4f800000, s33
	s_wait_alu 0xfffe
	s_delay_alu instid0(SALU_CYCLE_2) | instskip(NEXT) | instid1(TRANS32_DEP_1)
	v_s_rcp_f32 s33, s33
	s_mul_f32 s33, s33, 0x5f7ffffc
	s_wait_alu 0xfffe
	s_delay_alu instid0(SALU_CYCLE_2) | instskip(NEXT) | instid1(SALU_CYCLE_3)
	s_mul_f32 s35, s33, 0x2f800000
	s_trunc_f32 s35, s35
	s_delay_alu instid0(SALU_CYCLE_3) | instskip(SKIP_2) | instid1(SALU_CYCLE_1)
	s_fmamk_f32 s33, s35, 0xcf800000, s33
	s_cvt_u32_f32 s41, s35
	s_wait_alu 0xfffe
	s_cvt_u32_f32 s40, s33
	s_wait_alu 0xfffe
	s_delay_alu instid0(SALU_CYCLE_2)
	s_mul_u64 s[44:45], s[42:43], s[40:41]
	s_wait_alu 0xfffe
	s_mul_hi_u32 s49, s40, s45
	s_mul_i32 s48, s40, s45
	s_mul_hi_u32 s38, s40, s44
	s_mul_i32 s35, s41, s44
	s_add_nc_u64 s[48:49], s[38:39], s[48:49]
	s_mul_hi_u32 s33, s41, s44
	s_mul_hi_u32 s50, s41, s45
	s_add_co_u32 s35, s48, s35
	s_wait_alu 0xfffe
	s_add_co_ci_u32 s46, s49, s33
	s_mul_i32 s44, s41, s45
	s_add_co_ci_u32 s45, s50, 0
	s_wait_alu 0xfffe
	s_add_nc_u64 s[44:45], s[46:47], s[44:45]
	s_wait_alu 0xfffe
	v_add_co_u32 v1, s33, s40, s44
	s_delay_alu instid0(VALU_DEP_1) | instskip(SKIP_1) | instid1(VALU_DEP_1)
	s_cmp_lg_u32 s33, 0
	s_add_co_ci_u32 s41, s41, s45
	v_readfirstlane_b32 s40, v1
	s_mov_b32 s45, s34
	s_wait_alu 0xfffe
	s_delay_alu instid0(VALU_DEP_1)
	s_mul_u64 s[42:43], s[42:43], s[40:41]
	s_wait_alu 0xfffe
	s_mul_hi_u32 s47, s40, s43
	s_mul_i32 s46, s40, s43
	s_mul_hi_u32 s38, s40, s42
	s_mul_i32 s35, s41, s42
	s_add_nc_u64 s[46:47], s[38:39], s[46:47]
	s_mul_hi_u32 s33, s41, s42
	s_mul_hi_u32 s40, s41, s43
	s_add_co_u32 s35, s46, s35
	s_wait_alu 0xfffe
	s_add_co_ci_u32 s44, s47, s33
	s_mul_i32 s42, s41, s43
	s_add_co_ci_u32 s43, s40, 0
	s_wait_alu 0xfffe
	s_add_nc_u64 s[42:43], s[44:45], s[42:43]
	s_wait_alu 0xfffe
	v_add_co_u32 v1, s33, v1, s42
	s_delay_alu instid0(VALU_DEP_1) | instskip(SKIP_1) | instid1(VALU_DEP_1)
	s_cmp_lg_u32 s33, 0
	s_add_co_ci_u32 s33, s41, s43
	v_readfirstlane_b32 s35, v1
	s_wait_alu 0xfffe
	s_mul_hi_u32 s41, s26, s33
	s_mul_i32 s40, s26, s33
	s_mul_hi_u32 s43, s27, s33
	s_mul_i32 s42, s27, s33
	;; [unrolled: 2-line block ×3, first 2 shown]
	s_wait_alu 0xfffe
	s_add_nc_u64 s[40:41], s[38:39], s[40:41]
	s_mul_hi_u32 s35, s27, s35
	s_wait_alu 0xfffe
	s_add_co_u32 s33, s40, s33
	s_add_co_ci_u32 s44, s41, s35
	s_add_co_ci_u32 s43, s43, 0
	s_wait_alu 0xfffe
	s_add_nc_u64 s[40:41], s[44:45], s[42:43]
	s_wait_alu 0xfffe
	s_mul_u64 s[42:43], s[36:37], s[40:41]
	s_add_nc_u64 s[44:45], s[40:41], 1
	s_wait_alu 0xfffe
	v_sub_co_u32 v1, s33, s26, s42
	s_sub_co_i32 s35, s27, s43
	s_cmp_lg_u32 s33, 0
	s_add_nc_u64 s[46:47], s[40:41], 2
	s_delay_alu instid0(VALU_DEP_1) | instskip(SKIP_2) | instid1(VALU_DEP_1)
	v_sub_co_u32 v2, s38, v1, s36
	s_sub_co_ci_u32 s35, s35, s37
	s_cmp_lg_u32 s38, 0
	v_readfirstlane_b32 s38, v2
	s_sub_co_ci_u32 s35, s35, 0
	s_delay_alu instid0(SALU_CYCLE_1) | instskip(SKIP_1) | instid1(VALU_DEP_1)
	s_cmp_ge_u32 s35, s37
	s_cselect_b32 s42, -1, 0
	s_cmp_ge_u32 s38, s36
	s_cselect_b32 s38, -1, 0
	s_cmp_eq_u32 s35, s37
	s_wait_alu 0xfffe
	s_cselect_b32 s35, s38, s42
	s_delay_alu instid0(SALU_CYCLE_1)
	s_cmp_lg_u32 s35, 0
	s_cselect_b32 s35, s46, s44
	s_cselect_b32 s38, s47, s45
	s_cmp_lg_u32 s33, 0
	v_readfirstlane_b32 s33, v1
	s_sub_co_ci_u32 s42, s27, s43
	s_wait_alu 0xfffe
	s_cmp_ge_u32 s42, s37
	s_cselect_b32 s43, -1, 0
	s_cmp_ge_u32 s33, s36
	s_cselect_b32 s33, -1, 0
	s_cmp_eq_u32 s42, s37
	s_wait_alu 0xfffe
	s_cselect_b32 s33, s33, s43
	s_wait_alu 0xfffe
	s_cmp_lg_u32 s33, 0
	s_cselect_b32 s41, s38, s41
	s_cselect_b32 s40, s35, s40
.LBB0_6:                                ;   in Loop: Header=BB0_4 Depth=1
	s_and_not1_b32 vcc_lo, exec_lo, s39
	s_cbranch_vccnz .LBB0_8
; %bb.7:                                ;   in Loop: Header=BB0_4 Depth=1
	v_cvt_f32_u32_e32 v1, s36
	s_sub_co_i32 s35, 0, s36
	s_mov_b32 s41, s34
	s_delay_alu instid0(VALU_DEP_1) | instskip(NEXT) | instid1(TRANS32_DEP_1)
	v_rcp_iflag_f32_e32 v1, v1
	v_mul_f32_e32 v1, 0x4f7ffffe, v1
	s_delay_alu instid0(VALU_DEP_1) | instskip(NEXT) | instid1(VALU_DEP_1)
	v_cvt_u32_f32_e32 v1, v1
	v_readfirstlane_b32 s33, v1
	s_delay_alu instid0(VALU_DEP_1) | instskip(NEXT) | instid1(SALU_CYCLE_1)
	s_mul_i32 s35, s35, s33
	s_mul_hi_u32 s35, s33, s35
	s_delay_alu instid0(SALU_CYCLE_1)
	s_add_co_i32 s33, s33, s35
	s_wait_alu 0xfffe
	s_mul_hi_u32 s33, s26, s33
	s_wait_alu 0xfffe
	s_mul_i32 s35, s33, s36
	s_add_co_i32 s38, s33, 1
	s_sub_co_i32 s35, s26, s35
	s_delay_alu instid0(SALU_CYCLE_1)
	s_sub_co_i32 s39, s35, s36
	s_cmp_ge_u32 s35, s36
	s_cselect_b32 s33, s38, s33
	s_cselect_b32 s35, s39, s35
	s_wait_alu 0xfffe
	s_add_co_i32 s38, s33, 1
	s_cmp_ge_u32 s35, s36
	s_cselect_b32 s40, s38, s33
.LBB0_8:                                ;   in Loop: Header=BB0_4 Depth=1
	s_load_b64 s[38:39], s[28:29], 0x0
	s_add_nc_u64 s[30:31], s[30:31], 1
	s_mul_u64 s[20:21], s[36:37], s[20:21]
	s_wait_alu 0xfffe
	v_cmp_ge_u64_e64 s33, s[30:31], s[10:11]
	s_mul_u64 s[36:37], s[40:41], s[36:37]
	s_add_nc_u64 s[28:29], s[28:29], 8
	s_wait_alu 0xfffe
	s_sub_nc_u64 s[26:27], s[26:27], s[36:37]
	s_add_nc_u64 s[12:13], s[12:13], 8
	s_and_b32 vcc_lo, exec_lo, s33
	s_wait_kmcnt 0x0
	s_wait_alu 0xfffe
	s_mul_u64 s[26:27], s[38:39], s[26:27]
	s_wait_alu 0xfffe
	s_add_nc_u64 s[22:23], s[26:27], s[22:23]
	s_cbranch_vccnz .LBB0_10
; %bb.9:                                ;   in Loop: Header=BB0_4 Depth=1
	s_mov_b64 s[26:27], s[40:41]
	s_branch .LBB0_4
.LBB0_10:
	v_cmp_lt_u64_e64 s12, s[18:19], s[20:21]
	s_mov_b64 s[26:27], 0
	s_delay_alu instid0(VALU_DEP_1)
	s_and_b32 vcc_lo, exec_lo, s12
	s_cbranch_vccnz .LBB0_12
; %bb.11:
	v_cvt_f32_u32_e32 v1, s20
	s_sub_co_i32 s13, 0, s20
	s_mov_b32 s27, 0
	s_delay_alu instid0(VALU_DEP_1) | instskip(NEXT) | instid1(TRANS32_DEP_1)
	v_rcp_iflag_f32_e32 v1, v1
	v_mul_f32_e32 v1, 0x4f7ffffe, v1
	s_delay_alu instid0(VALU_DEP_1) | instskip(NEXT) | instid1(VALU_DEP_1)
	v_cvt_u32_f32_e32 v1, v1
	v_readfirstlane_b32 s12, v1
	s_delay_alu instid0(VALU_DEP_1) | instskip(NEXT) | instid1(SALU_CYCLE_1)
	s_mul_i32 s13, s13, s12
	s_mul_hi_u32 s13, s12, s13
	s_delay_alu instid0(SALU_CYCLE_1) | instskip(NEXT) | instid1(SALU_CYCLE_1)
	s_add_co_i32 s12, s12, s13
	s_mul_hi_u32 s12, s18, s12
	s_delay_alu instid0(SALU_CYCLE_1) | instskip(NEXT) | instid1(SALU_CYCLE_1)
	s_mul_i32 s13, s12, s20
	s_sub_co_i32 s13, s18, s13
	s_add_co_i32 s18, s12, 1
	s_sub_co_i32 s19, s13, s20
	s_cmp_ge_u32 s13, s20
	s_wait_alu 0xfffe
	s_cselect_b32 s12, s18, s12
	s_cselect_b32 s13, s19, s13
	s_add_co_i32 s18, s12, 1
	s_cmp_ge_u32 s13, s20
	s_wait_alu 0xfffe
	s_cselect_b32 s26, s18, s12
.LBB0_12:
	v_mul_u32_u24_e32 v1, 0x1746, v0
	s_lshl_b64 s[10:11], s[10:11], 3
	s_load_b64 s[0:1], s[0:1], 0x58
	s_add_nc_u64 s[10:11], s[14:15], s[10:11]
                                        ; implicit-def: $vgpr18
                                        ; implicit-def: $vgpr15
                                        ; implicit-def: $vgpr25
                                        ; implicit-def: $vgpr24
                                        ; implicit-def: $vgpr20
                                        ; implicit-def: $vgpr17
                                        ; implicit-def: $vgpr13
                                        ; implicit-def: $vgpr7
                                        ; implicit-def: $vgpr5
                                        ; implicit-def: $vgpr3
                                        ; implicit-def: $vgpr23
                                        ; implicit-def: $vgpr22
                                        ; implicit-def: $vgpr21
                                        ; implicit-def: $vgpr19
                                        ; implicit-def: $vgpr14
                                        ; implicit-def: $vgpr12
                                        ; implicit-def: $vgpr8
                                        ; implicit-def: $vgpr6
                                        ; implicit-def: $vgpr4
                                        ; implicit-def: $vgpr2
	s_load_b64 s[10:11], s[10:11], 0x0
	v_lshrrev_b32_e32 v11, 16, v1
	s_delay_alu instid0(VALU_DEP_1) | instskip(NEXT) | instid1(VALU_DEP_1)
	v_mul_lo_u16 v1, v11, 11
	v_sub_nc_u16 v1, v0, v1
	s_delay_alu instid0(VALU_DEP_1) | instskip(NEXT) | instid1(VALU_DEP_1)
	v_and_b32_e32 v16, 0xffff, v1
                                        ; implicit-def: $vgpr1
	v_add_co_u32 v9, s12, s24, v16
	s_delay_alu instid0(VALU_DEP_1) | instskip(SKIP_3) | instid1(VALU_DEP_2)
	v_add_co_ci_u32_e64 v10, null, s25, 0, s12
	s_add_nc_u64 s[12:13], s[24:25], 11
	s_wait_alu 0xfffe
	v_cmp_le_u64_e64 s12, s[12:13], s[2:3]
	v_cmp_gt_u64_e32 vcc_lo, s[2:3], v[9:10]
	s_wait_kmcnt 0x0
	s_mul_u64 s[2:3], s[10:11], s[26:27]
                                        ; implicit-def: $vgpr10
	s_wait_alu 0xfffe
	s_add_nc_u64 s[2:3], s[2:3], s[22:23]
	s_or_b32 s10, s12, vcc_lo
	s_wait_alu 0xfffe
	s_and_saveexec_b32 s11, s10
	s_cbranch_execz .LBB0_14
; %bb.13:
	v_mad_co_u64_u32 v[1:2], null, s6, v16, 0
	v_mad_co_u64_u32 v[3:4], null, s4, v11, 0
	v_add_nc_u32_e32 v8, 11, v11
	v_add_nc_u32_e32 v10, 22, v11
	s_lshl_b64 s[12:13], s[2:3], 2
	v_add_nc_u32_e32 v21, 55, v11
	s_wait_alu 0xfffe
	s_add_nc_u64 s[12:13], s[0:1], s[12:13]
	v_add_nc_u32_e32 v23, 0x4d, v11
	v_mad_co_u64_u32 v[5:6], null, s7, v16, v[2:3]
	v_mad_co_u64_u32 v[6:7], null, s4, v8, 0
	;; [unrolled: 1-line block ×3, first 2 shown]
	v_add_nc_u32_e32 v19, 33, v11
	v_add_nc_u32_e32 v27, 0x58, v11
	v_mad_co_u64_u32 v[14:15], null, s5, v11, v[4:5]
	v_dual_mov_b32 v2, v5 :: v_dual_mov_b32 v5, v7
	v_mov_b32_e32 v7, v13
	v_mad_co_u64_u32 v[17:18], null, s4, v19, 0
	s_delay_alu instid0(VALU_DEP_3) | instskip(SKIP_4) | instid1(VALU_DEP_4)
	v_lshlrev_b64_e32 v[1:2], 2, v[1:2]
	v_mov_b32_e32 v4, v14
	v_mad_co_u64_u32 v[13:14], null, s5, v8, v[5:6]
	v_mad_co_u64_u32 v[14:15], null, s5, v10, v[7:8]
	s_wait_alu 0xfffe
	v_add_co_u32 v10, vcc_lo, s12, v1
	v_add_co_ci_u32_e32 v33, vcc_lo, s13, v2, vcc_lo
	s_delay_alu instid0(VALU_DEP_4) | instskip(SKIP_3) | instid1(VALU_DEP_3)
	v_mov_b32_e32 v7, v13
	v_lshlrev_b64_e32 v[3:4], 2, v[3:4]
	v_dual_mov_b32 v5, v18 :: v_dual_add_nc_u32 v8, 44, v11
	v_dual_mov_b32 v13, v14 :: v_dual_add_nc_u32 v30, 0x63, v11
	v_add_co_u32 v1, vcc_lo, v10, v3
	s_wait_alu 0xfffd
	s_delay_alu instid0(VALU_DEP_4) | instskip(SKIP_2) | instid1(VALU_DEP_2)
	v_add_co_ci_u32_e32 v2, vcc_lo, v33, v4, vcc_lo
	v_lshlrev_b64_e32 v[3:4], 2, v[6:7]
	v_mad_co_u64_u32 v[6:7], null, s4, v8, 0
	v_add_co_u32 v3, vcc_lo, v10, v3
	s_wait_alu 0xfffd
	s_delay_alu instid0(VALU_DEP_3) | instskip(NEXT) | instid1(VALU_DEP_3)
	v_add_co_ci_u32_e32 v4, vcc_lo, v33, v4, vcc_lo
	v_mad_co_u64_u32 v[14:15], null, s5, v19, v[5:6]
	v_mad_co_u64_u32 v[19:20], null, s4, v21, 0
	s_delay_alu instid0(VALU_DEP_2) | instskip(SKIP_1) | instid1(VALU_DEP_2)
	v_dual_mov_b32 v5, v7 :: v_dual_mov_b32 v18, v14
	v_lshlrev_b64_e32 v[12:13], 2, v[12:13]
	v_mad_co_u64_u32 v[7:8], null, s5, v8, v[5:6]
	v_add_nc_u32_e32 v8, 0x42, v11
	s_delay_alu instid0(VALU_DEP_4) | instskip(NEXT) | instid1(VALU_DEP_4)
	v_lshlrev_b64_e32 v[14:15], 2, v[17:18]
	v_add_co_u32 v12, vcc_lo, v10, v12
	s_wait_alu 0xfffd
	v_add_co_ci_u32_e32 v13, vcc_lo, v33, v13, vcc_lo
	s_delay_alu instid0(VALU_DEP_3) | instskip(SKIP_4) | instid1(VALU_DEP_1)
	v_add_co_u32 v25, vcc_lo, v10, v14
	s_wait_alu 0xfffd
	v_add_co_ci_u32_e32 v26, vcc_lo, v33, v15, vcc_lo
	v_mad_co_u64_u32 v[14:15], null, s4, v23, 0
	v_mov_b32_e32 v5, v20
	v_mad_co_u64_u32 v[17:18], null, s5, v21, v[5:6]
	v_mad_co_u64_u32 v[21:22], null, s4, v8, 0
	v_lshlrev_b64_e32 v[5:6], 2, v[6:7]
	s_delay_alu instid0(VALU_DEP_3) | instskip(SKIP_1) | instid1(VALU_DEP_4)
	v_mov_b32_e32 v20, v17
	v_mad_co_u64_u32 v[17:18], null, s4, v27, 0
	v_mov_b32_e32 v7, v22
	s_delay_alu instid0(VALU_DEP_4) | instskip(NEXT) | instid1(VALU_DEP_4)
	v_add_co_u32 v5, vcc_lo, v10, v5
	v_lshlrev_b64_e32 v[19:20], 2, v[19:20]
	s_wait_alu 0xfffd
	v_add_co_ci_u32_e32 v6, vcc_lo, v33, v6, vcc_lo
	v_mad_co_u64_u32 v[7:8], null, s5, v8, v[7:8]
	v_mov_b32_e32 v8, v15
	s_delay_alu instid0(VALU_DEP_4) | instskip(SKIP_2) | instid1(VALU_DEP_4)
	v_add_co_u32 v19, vcc_lo, v10, v19
	s_wait_alu 0xfffd
	v_add_co_ci_u32_e32 v20, vcc_lo, v33, v20, vcc_lo
	v_mov_b32_e32 v22, v7
	v_mad_co_u64_u32 v[7:8], null, s5, v23, v[8:9]
	v_mad_co_u64_u32 v[23:24], null, s4, v30, 0
	v_dual_mov_b32 v8, v18 :: v_dual_add_nc_u32 v31, 0x6e, v11
	s_delay_alu instid0(VALU_DEP_4) | instskip(NEXT) | instid1(VALU_DEP_2)
	v_lshlrev_b64_e32 v[21:22], 2, v[21:22]
	v_mad_co_u64_u32 v[27:28], null, s5, v27, v[8:9]
	s_delay_alu instid0(VALU_DEP_4) | instskip(NEXT) | instid1(VALU_DEP_4)
	v_mov_b32_e32 v8, v24
	v_mad_co_u64_u32 v[28:29], null, s4, v31, 0
	v_mov_b32_e32 v15, v7
	v_add_co_u32 v21, vcc_lo, v10, v21
	v_mov_b32_e32 v18, v27
	v_mad_co_u64_u32 v[7:8], null, s5, v30, v[8:9]
	v_mov_b32_e32 v8, v29
	v_lshlrev_b64_e32 v[14:15], 2, v[14:15]
	s_delay_alu instid0(VALU_DEP_4)
	v_lshlrev_b64_e32 v[17:18], 2, v[17:18]
	s_wait_alu 0xfffd
	v_add_co_ci_u32_e32 v22, vcc_lo, v33, v22, vcc_lo
	v_mad_co_u64_u32 v[29:30], null, s5, v31, v[8:9]
	v_mov_b32_e32 v24, v7
	v_add_co_u32 v7, vcc_lo, v10, v14
	s_wait_alu 0xfffd
	v_add_co_ci_u32_e32 v8, vcc_lo, v33, v15, vcc_lo
	s_delay_alu instid0(VALU_DEP_3) | instskip(SKIP_4) | instid1(VALU_DEP_4)
	v_lshlrev_b64_e32 v[14:15], 2, v[23:24]
	v_add_co_u32 v30, vcc_lo, v10, v17
	s_wait_alu 0xfffd
	v_add_co_ci_u32_e32 v31, vcc_lo, v33, v18, vcc_lo
	v_lshlrev_b64_e32 v[17:18], 2, v[28:29]
	v_add_co_u32 v27, vcc_lo, v10, v14
	s_wait_alu 0xfffd
	v_add_co_ci_u32_e32 v28, vcc_lo, v33, v15, vcc_lo
	s_delay_alu instid0(VALU_DEP_3)
	v_add_co_u32 v32, vcc_lo, v10, v17
	s_wait_alu 0xfffd
	v_add_co_ci_u32_e32 v33, vcc_lo, v33, v18, vcc_lo
	s_clause 0xa
	global_load_b32 v15, v[1:2], off
	global_load_b32 v24, v[3:4], off
	;; [unrolled: 1-line block ×11, first 2 shown]
	s_wait_loadcnt 0xa
	v_lshrrev_b32_e32 v18, 16, v15
	s_wait_loadcnt 0x9
	v_lshrrev_b32_e32 v25, 16, v24
	;; [unrolled: 2-line block ×11, first 2 shown]
.LBB0_14:
	s_wait_alu 0xfffe
	s_or_b32 exec_lo, exec_lo, s11
	v_add_f16_e32 v26, v18, v25
	v_add_f16_e32 v27, v15, v24
	;; [unrolled: 1-line block ×3, first 2 shown]
	v_sub_f16_e32 v24, v24, v22
	v_add_f16_e32 v29, v25, v23
	v_add_f16_e32 v26, v26, v20
	;; [unrolled: 1-line block ×3, first 2 shown]
	v_sub_f16_e32 v25, v25, v23
	v_mul_f16_e32 v30, 0x3abb, v28
	v_mul_f16_e32 v31, 0xb853, v24
	v_add_f16_e32 v26, v26, v13
	v_add_f16_e32 v27, v27, v10
	v_mul_f16_e32 v32, 0x36a6, v28
	v_mul_f16_e32 v33, 0xbb47, v24
	;; [unrolled: 1-line block ×3, first 2 shown]
	v_add_f16_e32 v26, v26, v7
	v_add_f16_e32 v27, v27, v5
	v_mul_f16_e32 v35, 0xbbeb, v24
	v_add_f16_e32 v44, v17, v19
	v_mul_f16_e32 v36, 0xb93d, v28
	v_add_f16_e32 v26, v26, v3
	v_add_f16_e32 v27, v27, v1
	v_mul_f16_e32 v37, 0xba0c, v24
	v_fmamk_f16 v38, v25, 0x3853, v30
	v_fmamk_f16 v39, v29, 0x3abb, v31
	v_add_f16_e32 v26, v26, v4
	v_add_f16_e32 v27, v27, v2
	v_fmac_f16_e32 v30, 0xb853, v25
	v_fma_f16 v31, v29, 0x3abb, -v31
	v_fmamk_f16 v40, v25, 0x3b47, v32
	v_add_f16_e32 v26, v8, v26
	v_add_f16_e32 v27, v6, v27
	v_fmamk_f16 v41, v29, 0x36a6, v33
	v_fmamk_f16 v42, v25, 0x3beb, v34
	;; [unrolled: 1-line block ×3, first 2 shown]
	v_add_f16_e32 v26, v14, v26
	v_add_f16_e32 v27, v12, v27
	v_mul_f16_e32 v28, 0xbbad, v28
	v_mul_f16_e32 v24, 0xb482, v24
	v_sub_f16_e32 v46, v20, v21
	v_add_f16_e32 v26, v21, v26
	v_add_f16_e32 v27, v19, v27
	v_mul_f16_e32 v47, 0x36a6, v44
	v_sub_f16_e32 v17, v17, v19
	v_fmac_f16_e32 v32, 0xbb47, v25
	v_add_f16_e32 v23, v23, v26
	v_add_f16_e32 v22, v22, v27
	v_fma_f16 v33, v29, 0x36a6, -v33
	v_fmac_f16_e32 v34, 0xbbeb, v25
	v_fma_f16 v35, v29, 0xb08e, -v35
	v_lshlrev_b32_e32 v23, 16, v23
	v_and_b32_e32 v22, 0xffff, v22
	v_add_f16_e32 v38, v15, v38
	v_add_f16_e32 v26, v15, v30
	;; [unrolled: 1-line block ×6, first 2 shown]
	v_or_b32_e32 v22, v23, v22
	v_add_f16_e32 v23, v18, v43
	v_fmamk_f16 v41, v25, 0x3a0c, v36
	v_fmamk_f16 v42, v29, 0xb93d, v37
	v_fmac_f16_e32 v36, 0xba0c, v25
	v_fma_f16 v37, v29, 0xb93d, -v37
	v_fmamk_f16 v43, v25, 0x3482, v28
	v_fmamk_f16 v45, v29, 0xbbad, v24
	v_fmac_f16_e32 v28, 0xb482, v25
	v_fma_f16 v19, v29, 0xbbad, -v24
	v_add_f16_e32 v20, v20, v21
	v_fmamk_f16 v21, v46, 0x3b47, v47
	v_mul_f16_e32 v24, 0xbb47, v17
	v_add_f16_e32 v39, v18, v39
	v_add_f16_e32 v32, v15, v32
	;; [unrolled: 1-line block ×14, first 2 shown]
	v_fmamk_f16 v21, v20, 0x36a6, v24
	v_mul_f16_e32 v28, 0xb93d, v44
	v_fma_f16 v24, v20, 0x36a6, -v24
	v_mul_f16_e32 v29, 0xba0c, v17
	v_mul_f16_e32 v45, 0x3beb, v17
	v_add_f16_e32 v21, v39, v21
	v_fmamk_f16 v38, v46, 0x3a0c, v28
	v_add_f16_e32 v24, v27, v24
	v_fmamk_f16 v27, v20, 0xb93d, v29
	v_mul_f16_e32 v39, 0xbbad, v44
	v_fmac_f16_e32 v28, 0xba0c, v46
	v_add_f16_e32 v30, v30, v38
	v_fma_f16 v29, v20, 0xb93d, -v29
	v_add_f16_e32 v27, v31, v27
	v_fmamk_f16 v31, v46, 0xb482, v39
	v_mul_f16_e32 v38, 0x3482, v17
	v_add_f16_e32 v28, v32, v28
	v_mul_f16_e32 v32, 0xb08e, v44
	v_add_f16_e32 v29, v33, v29
	v_add_f16_e32 v31, v40, v31
	v_fmamk_f16 v33, v20, 0xbbad, v38
	v_fmac_f16_e32 v39, 0x3482, v46
	v_fma_f16 v38, v20, 0xbbad, -v38
	v_fmamk_f16 v40, v46, 0xbbeb, v32
	v_fmac_f16_e32 v32, 0x3beb, v46
	v_add_f16_e32 v23, v23, v33
	v_add_f16_e32 v33, v34, v39
	;; [unrolled: 1-line block ×4, first 2 shown]
	v_mul_f16_e32 v39, 0x3abb, v44
	v_fma_f16 v40, v20, 0xb08e, -v45
	v_fmamk_f16 v38, v20, 0xb08e, v45
	v_mul_f16_e32 v17, 0x3853, v17
	v_add_f16_e32 v32, v36, v32
	v_fmamk_f16 v41, v46, 0xb853, v39
	v_add_f16_e32 v36, v37, v40
	v_add_f16_e32 v37, v10, v12
	v_sub_f16_e32 v10, v10, v12
	v_add_f16_e32 v38, v42, v38
	v_fmamk_f16 v42, v20, 0x3abb, v17
	v_add_f16_e32 v40, v43, v41
	v_sub_f16_e32 v12, v13, v14
	v_mul_f16_e32 v41, 0xb08e, v37
	v_fmac_f16_e32 v39, 0x3853, v46
	v_fma_f16 v17, v20, 0x3abb, -v17
	v_add_f16_e32 v13, v13, v14
	v_mul_f16_e32 v14, 0xbbeb, v10
	v_fmac_f16_e32 v47, 0xbb47, v46
	v_fmamk_f16 v20, v12, 0x3beb, v41
	v_add_f16_e32 v15, v15, v39
	v_add_f16_e32 v17, v18, v17
	v_mul_f16_e32 v18, 0xbbad, v37
	v_fmamk_f16 v39, v13, 0xb08e, v14
	v_add_f16_e32 v26, v26, v47
	v_add_f16_e32 v19, v19, v20
	v_fmac_f16_e32 v41, 0xbbeb, v12
	v_fmamk_f16 v20, v12, 0xb482, v18
	v_add_f16_e32 v21, v21, v39
	v_mul_f16_e32 v39, 0x3482, v10
	v_fma_f16 v14, v13, 0xb08e, -v14
	v_add_f16_e32 v26, v26, v41
	v_add_f16_e32 v20, v30, v20
	v_fmac_f16_e32 v18, 0x3482, v12
	v_fmamk_f16 v30, v13, 0xbbad, v39
	v_fma_f16 v39, v13, 0xbbad, -v39
	v_mul_f16_e32 v41, 0x3b47, v10
	v_add_f16_e32 v14, v24, v14
	v_mul_f16_e32 v24, 0x36a6, v37
	v_add_f16_e32 v18, v28, v18
	v_add_f16_e32 v28, v29, v39
	v_fmamk_f16 v29, v13, 0x36a6, v41
	v_add_f16_e32 v25, v25, v42
	v_fmamk_f16 v42, v12, 0xbb47, v24
	v_fmac_f16_e32 v24, 0x3b47, v12
	v_fma_f16 v39, v13, 0x36a6, -v41
	v_add_f16_e32 v23, v23, v29
	v_mul_f16_e32 v29, 0xb853, v10
	v_add_f16_e32 v27, v27, v30
	v_add_f16_e32 v30, v31, v42
	v_mul_f16_e32 v31, 0x3abb, v37
	v_add_f16_e32 v24, v33, v24
	v_add_f16_e32 v33, v34, v39
	v_mul_f16_e32 v34, 0xb93d, v37
	v_fmamk_f16 v37, v13, 0x3abb, v29
	v_fma_f16 v29, v13, 0x3abb, -v29
	v_mul_f16_e32 v10, 0xba0c, v10
	v_fmamk_f16 v41, v12, 0x3853, v31
	v_fmac_f16_e32 v31, 0xb853, v12
	v_fmamk_f16 v39, v12, 0x3a0c, v34
	v_add_f16_e32 v29, v36, v29
	v_add_f16_e32 v36, v5, v6
	v_sub_f16_e32 v5, v5, v6
	v_add_f16_e32 v37, v38, v37
	v_fmamk_f16 v38, v13, 0xb93d, v10
	v_fmac_f16_e32 v34, 0xba0c, v12
	v_sub_f16_e32 v6, v7, v8
	v_mul_f16_e32 v12, 0xb93d, v36
	v_fma_f16 v10, v13, 0xb93d, -v10
	v_add_f16_e32 v7, v7, v8
	v_mul_f16_e32 v8, 0xba0c, v5
	v_add_f16_e32 v13, v25, v38
	v_fmamk_f16 v25, v6, 0x3a0c, v12
	v_add_f16_e32 v15, v15, v34
	v_add_f16_e32 v10, v17, v10
	v_fmamk_f16 v17, v7, 0xb93d, v8
	v_mul_f16_e32 v34, 0xb08e, v36
	v_add_f16_e32 v19, v19, v25
	v_fma_f16 v8, v7, 0xb93d, -v8
	v_mul_f16_e32 v25, 0x3beb, v5
	v_add_f16_e32 v17, v21, v17
	v_fmamk_f16 v21, v6, 0xbbeb, v34
	v_fmac_f16_e32 v12, 0xba0c, v6
	v_add_f16_e32 v8, v14, v8
	v_mul_f16_e32 v14, 0x3abb, v36
	v_mul_f16_e32 v38, 0xb853, v5
	v_add_f16_e32 v20, v20, v21
	v_fmamk_f16 v21, v7, 0xb08e, v25
	v_fma_f16 v25, v7, 0xb08e, -v25
	v_add_f16_e32 v12, v26, v12
	v_fmac_f16_e32 v34, 0x3beb, v6
	v_fmamk_f16 v26, v6, 0x3853, v14
	v_add_f16_e32 v21, v27, v21
	v_add_f16_e32 v25, v28, v25
	v_fmamk_f16 v27, v7, 0x3abb, v38
	v_mul_f16_e32 v28, 0xbbad, v36
	v_add_f16_e32 v31, v32, v31
	v_add_f16_e32 v18, v18, v34
	;; [unrolled: 1-line block ×3, first 2 shown]
	v_fmac_f16_e32 v14, 0xb853, v6
	v_fma_f16 v30, v7, 0x3abb, -v38
	v_mul_f16_e32 v34, 0xb482, v5
	v_add_f16_e32 v23, v23, v27
	v_fmamk_f16 v27, v6, 0x3482, v28
	v_fmac_f16_e32 v28, 0xb482, v6
	v_add_f16_e32 v35, v35, v41
	v_add_f16_e32 v14, v24, v14
	;; [unrolled: 1-line block ×3, first 2 shown]
	v_fmamk_f16 v30, v7, 0xbbad, v34
	v_mul_f16_e32 v33, 0x36a6, v36
	v_fma_f16 v34, v7, 0xbbad, -v34
	v_mul_f16_e32 v5, 0x3b47, v5
	v_add_f16_e32 v28, v31, v28
	v_add_f16_e32 v31, v1, v2
	v_sub_f16_e32 v1, v1, v2
	v_add_f16_e32 v32, v40, v39
	v_add_f16_e32 v27, v35, v27
	v_fmamk_f16 v35, v6, 0xbb47, v33
	v_add_f16_e32 v29, v29, v34
	v_fmamk_f16 v34, v7, 0x36a6, v5
	v_sub_f16_e32 v2, v3, v4
	v_fma_f16 v5, v7, 0x36a6, -v5
	v_add_f16_e32 v3, v3, v4
	v_mul_f16_e32 v4, 0xb482, v1
	v_add_f16_e32 v32, v32, v35
	v_mul_f16_e32 v35, 0xbbad, v31
	v_fmac_f16_e32 v33, 0x3b47, v6
	v_add_f16_e32 v5, v10, v5
	v_fmamk_f16 v10, v3, 0xbbad, v4
	v_add_f16_e32 v7, v13, v34
	v_fmamk_f16 v6, v2, 0x3482, v35
	v_add_f16_e32 v13, v15, v33
	v_mul_f16_e32 v15, 0x3abb, v31
	v_fma_f16 v4, v3, 0xbbad, -v4
	v_add_f16_e32 v17, v17, v10
	v_mul_f16_e32 v10, 0x3853, v1
	v_add_f16_e32 v6, v19, v6
	v_fmamk_f16 v19, v2, 0xb853, v15
	v_add_f16_e32 v4, v8, v4
	v_mul_f16_e32 v8, 0xb93d, v31
	v_fmamk_f16 v33, v3, 0x3abb, v10
	v_fmac_f16_e32 v15, 0x3853, v2
	v_fma_f16 v10, v3, 0x3abb, -v10
	v_add_f16_e32 v19, v20, v19
	v_fmamk_f16 v20, v2, 0x3a0c, v8
	v_add_f16_e32 v21, v21, v33
	v_mul_f16_e32 v33, 0xba0c, v1
	v_add_f16_e32 v15, v18, v15
	v_add_f16_e32 v18, v25, v10
	v_mul_f16_e32 v10, 0x36a6, v31
	v_add_f16_e32 v20, v26, v20
	v_fmamk_f16 v25, v3, 0xb93d, v33
	v_fmac_f16_e32 v8, 0xba0c, v2
	v_mul_f16_e32 v26, 0x3b47, v1
	v_fmamk_f16 v34, v2, 0xbb47, v10
	v_fmac_f16_e32 v10, 0x3b47, v2
	v_add_f16_e32 v30, v37, v30
	v_add_f16_e32 v23, v23, v25
	;; [unrolled: 1-line block ×3, first 2 shown]
	v_fmamk_f16 v14, v3, 0x36a6, v26
	v_add_f16_e32 v25, v27, v34
	v_fma_f16 v26, v3, 0x36a6, -v26
	v_mul_f16_e32 v27, 0xb08e, v31
	v_mul_f16_e32 v1, 0xbbeb, v1
	v_add_f16_e32 v28, v28, v10
	v_mad_u32_u24 v10, 0x1e4, v11, 0
	v_add_f16_e32 v14, v30, v14
	v_add_f16_e32 v26, v29, v26
	v_fmamk_f16 v29, v2, 0x3beb, v27
	v_fmamk_f16 v30, v3, 0xb08e, v1
	v_fmac_f16_e32 v27, 0xbbeb, v2
	v_fma_f16 v1, v3, 0xb08e, -v1
	v_fma_f16 v33, v3, 0xb93d, -v33
	v_fmac_f16_e32 v35, 0xb482, v2
	v_lshl_add_u32 v2, v16, 2, v10
	v_pack_b32_f16 v3, v6, v17
	v_add_f16_e32 v6, v32, v29
	v_add_f16_e32 v7, v7, v30
	v_add_f16_e32 v13, v13, v27
	v_add_f16_e32 v1, v5, v1
	v_add_f16_e32 v24, v24, v33
	v_add_f16_e32 v12, v12, v35
	ds_store_2addr_b32 v2, v22, v3 offset1:11
	v_pack_b32_f16 v3, v19, v21
	v_pack_b32_f16 v5, v20, v23
	;; [unrolled: 1-line block ×9, first 2 shown]
	ds_store_2addr_b32 v2, v3, v5 offset0:22 offset1:33
	ds_store_2addr_b32 v2, v14, v6 offset0:44 offset1:55
	;; [unrolled: 1-line block ×4, first 2 shown]
	ds_store_b32 v2, v4 offset:440
	global_wb scope:SCOPE_SE
	s_wait_dscnt 0x0
	s_barrier_signal -1
	s_barrier_wait -1
	global_inv scope:SCOPE_SE
	s_and_saveexec_b32 s11, s10
	s_cbranch_execz .LBB0_16
; %bb.15:
	v_mul_lo_u16 v1, v11, 24
	s_lshl_b64 s[2:3], s[2:3], 2
	s_wait_alu 0xfffe
	s_add_nc_u64 s[0:1], s[0:1], s[2:3]
	s_delay_alu instid0(VALU_DEP_1) | instskip(NEXT) | instid1(VALU_DEP_1)
	v_lshrrev_b16 v1, 8, v1
	v_mul_lo_u16 v1, v1, 11
	s_delay_alu instid0(VALU_DEP_1) | instskip(SKIP_1) | instid1(VALU_DEP_2)
	v_sub_nc_u16 v1, v11, v1
	v_mul_i32_i24_e32 v11, 0xfffffe48, v11
	v_and_b32_e32 v17, 0xff, v1
	s_delay_alu instid0(VALU_DEP_1)
	v_mul_u32_u24_e32 v1, 10, v17
	v_add_nc_u32_e32 v14, 0x6e, v17
	v_add_nc_u32_e32 v15, 0x63, v17
	v_add_nc_u32_e32 v18, 0x58, v17
	v_add_nc_u32_e32 v19, 0x4d, v17
	v_lshlrev_b32_e32 v12, 2, v1
	v_mul_lo_u32 v14, v9, v14
	v_add_nc_u32_e32 v20, 0x42, v17
	v_mul_lo_u32 v15, v9, v15
	v_mul_lo_u32 v18, v9, v18
	s_clause 0x1
	global_load_b128 v[5:8], v12, s[16:17] offset:16
	global_load_b128 v[1:4], v12, s[16:17]
	v_mul_lo_u32 v19, v9, v19
	v_mul_lo_u32 v20, v9, v20
	global_load_b64 v[12:13], v12, s[16:17] offset:32
	v_lshrrev_b32_e32 v21, 14, v14
	v_and_b32_e32 v22, 0xff, v14
	v_lshrrev_b32_e32 v14, 6, v14
	v_lshrrev_b32_e32 v23, 14, v15
	v_and_b32_e32 v24, 0xff, v15
	v_lshrrev_b32_e32 v15, 6, v15
	v_lshrrev_b32_e32 v25, 14, v18
	v_and_b32_e32 v26, 0xff, v18
	v_lshrrev_b32_e32 v18, 6, v18
	v_lshrrev_b32_e32 v27, 14, v19
	v_and_b32_e32 v28, 0xff, v19
	v_lshrrev_b32_e32 v19, 6, v19
	v_lshrrev_b32_e32 v29, 14, v20
	v_and_b32_e32 v30, 0xff, v20
	v_lshrrev_b32_e32 v20, 6, v20
	v_and_b32_e32 v21, 0x3fc, v21
	v_lshlrev_b32_e32 v22, 2, v22
	v_and_b32_e32 v14, 0x3fc, v14
	v_and_b32_e32 v23, 0x3fc, v23
	v_lshlrev_b32_e32 v24, 2, v24
	v_and_b32_e32 v15, 0x3fc, v15
	;; [unrolled: 3-line block ×5, first 2 shown]
	s_clause 0xe
	global_load_b32 v69, v21, s[8:9] offset:2048
	global_load_b32 v76, v22, s[8:9]
	global_load_b32 v62, v14, s[8:9] offset:1024
	global_load_b32 v68, v23, s[8:9] offset:2048
	global_load_b32 v64, v24, s[8:9]
	global_load_b32 v61, v15, s[8:9] offset:1024
	;; [unrolled: 3-line block ×5, first 2 shown]
	v_lshlrev_b32_e32 v14, 2, v16
	v_add_nc_u32_e32 v15, 55, v17
	s_delay_alu instid0(VALU_DEP_2) | instskip(NEXT) | instid1(VALU_DEP_2)
	v_add3_u32 v19, v10, v11, v14
	v_mul_lo_u32 v18, v9, v15
	s_delay_alu instid0(VALU_DEP_2)
	v_add_nc_u32_e32 v14, 0xa00, v19
	v_add_nc_u32_e32 v21, 0x600, v19
	;; [unrolled: 1-line block ×4, first 2 shown]
	ds_load_2addr_b32 v[10:11], v19 offset1:121
	ds_load_b32 v32, v19 offset:4840
	ds_load_2addr_b32 v[14:15], v14 offset0:86 offset1:207
	v_and_b32_e32 v23, 0xff, v18
	ds_load_2addr_b32 v[33:34], v21 offset0:100 offset1:221
	ds_load_2addr_b32 v[35:36], v20 offset0:114 offset1:235
	;; [unrolled: 1-line block ×3, first 2 shown]
	ds_load_u16 v26, v19 offset:2422
	v_lshrrev_b32_e32 v19, 6, v18
	v_add_nc_u32_e32 v21, 33, v17
	v_lshlrev_b32_e32 v20, 2, v23
	v_lshrrev_b32_e32 v18, 14, v18
	s_delay_alu instid0(VALU_DEP_4) | instskip(NEXT) | instid1(VALU_DEP_4)
	v_and_b32_e32 v19, 0x3fc, v19
	v_mul_lo_u32 v21, v9, v21
	global_load_b32 v84, v20, s[8:9]
	v_and_b32_e32 v18, 0x3fc, v18
	global_load_b32 v80, v19, s[8:9] offset:1024
	v_add_nc_u32_e32 v20, 44, v17
	v_lshrrev_b32_e32 v25, 6, v21
	v_and_b32_e32 v23, 0xff, v21
	s_delay_alu instid0(VALU_DEP_3)
	v_mul_lo_u32 v20, v9, v20
	v_lshrrev_b32_e32 v21, 14, v21
	s_wait_dscnt 0x4
	v_lshrrev_b32_e32 v27, 16, v14
	v_and_b32_e32 v25, 0x3fc, v25
	v_lshlrev_b32_e32 v23, 2, v23
	s_wait_dscnt 0x3
	v_lshrrev_b32_e32 v28, 16, v33
	v_and_b32_e32 v21, 0x3fc, v21
	v_lshrrev_b32_e32 v41, 16, v15
	v_lshrrev_b32_e32 v22, 6, v20
	v_and_b32_e32 v19, 0xff, v20
	v_lshrrev_b32_e32 v20, 14, v20
	s_wait_dscnt 0x2
	v_lshrrev_b32_e32 v42, 16, v36
	s_wait_dscnt 0x1
	v_lshrrev_b32_e32 v43, 16, v37
	v_and_b32_e32 v22, 0x3fc, v22
	v_lshlrev_b32_e32 v19, 2, v19
	v_and_b32_e32 v20, 0x3fc, v20
	v_lshrrev_b32_e32 v44, 16, v35
	s_clause 0x6
	global_load_b32 v83, v18, s[8:9] offset:2048
	global_load_b32 v81, v22, s[8:9] offset:1024
	;; [unrolled: 1-line block ×3, first 2 shown]
	global_load_b32 v78, v23, s[8:9]
	global_load_b32 v51, v21, s[8:9] offset:2048
	global_load_b32 v82, v19, s[8:9]
	global_load_b32 v79, v20, s[8:9] offset:2048
	v_lshrrev_b32_e32 v39, 16, v11
	v_lshrrev_b32_e32 v40, 16, v32
	;; [unrolled: 1-line block ×4, first 2 shown]
	s_wait_loadcnt 0x1a
	v_lshrrev_b32_e32 v18, 16, v5
	v_lshrrev_b32_e32 v19, 16, v6
	;; [unrolled: 1-line block ×4, first 2 shown]
	s_wait_loadcnt 0x19
	v_lshrrev_b32_e32 v31, 16, v2
	v_lshrrev_b32_e32 v47, 16, v3
	;; [unrolled: 1-line block ×3, first 2 shown]
	v_mul_f16_e32 v23, v18, v34
	v_mul_f16_e32 v22, v14, v19
	s_wait_dscnt 0x0
	v_mul_f16_e32 v50, v26, v18
	v_mul_f16_e32 v52, v27, v19
	;; [unrolled: 1-line block ×12, first 2 shown]
	v_lshrrev_b32_e32 v46, 16, v1
	s_wait_loadcnt 0x18
	v_lshrrev_b32_e32 v49, 16, v13
	v_fmac_f16_e32 v23, v26, v5
	v_fmac_f16_e32 v22, v27, v6
	v_fma_f16 v27, v5, v34, -v50
	v_fma_f16 v26, v14, v6, -v52
	v_fmac_f16_e32 v21, v41, v7
	v_fma_f16 v14, v15, v7, -v54
	v_fmac_f16_e32 v29, v3, v42
	v_fmac_f16_e32 v20, v43, v8
	v_fma_f16 v15, v3, v36, -v47
	v_fma_f16 v7, v37, v8, -v55
	v_fmac_f16_e32 v30, v2, v44
	v_fma_f16 v8, v2, v35, -v56
	s_wait_loadcnt 0x16
	v_lshrrev_b32_e32 v2, 16, v76
	s_wait_loadcnt 0x15
	v_lshrrev_b32_e32 v3, 16, v62
	;; [unrolled: 2-line block ×3, first 2 shown]
	v_mul_f16_e32 v31, v46, v11
	v_mul_f16_e32 v18, v32, v49
	;; [unrolled: 1-line block ×3, first 2 shown]
	v_lshrrev_b32_e32 v90, 16, v64
	s_wait_loadcnt 0xf
	v_lshrrev_b32_e32 v37, 16, v74
	s_wait_loadcnt 0xa
	;; [unrolled: 2-line block ×3, first 2 shown]
	v_lshrrev_b32_e32 v42, 16, v70
	v_mul_f16_e32 v88, v2, v3
	v_mul_f16_e32 v3, v76, v3
	;; [unrolled: 1-line block ×3, first 2 shown]
	v_lshrrev_b32_e32 v48, 16, v12
	v_fmac_f16_e32 v25, v4, v28
	v_fma_f16 v28, v4, v33, -v53
	v_fmac_f16_e32 v31, v1, v39
	v_fmac_f16_e32 v18, v40, v13
	v_fma_f16 v11, v1, v11, -v46
	v_lshrrev_b32_e32 v1, 16, v69
	v_lshrrev_b32_e32 v4, 16, v68
	v_lshrrev_b32_e32 v91, 16, v75
	v_lshrrev_b32_e32 v93, 16, v73
	v_lshrrev_b32_e32 v41, 16, v72
	v_mul_f16_e32 v92, v90, v34
	v_mul_f16_e32 v111, v75, v37
	;; [unrolled: 1-line block ×3, first 2 shown]
	v_fma_f16 v115, v76, v62, -v88
	v_fmac_f16_e32 v3, v2, v62
	v_fmac_f16_e32 v110, v90, v61
	v_mul_f16_e32 v19, v38, v48
	v_mul_f16_e32 v49, v40, v49
	v_lshrrev_b32_e32 v95, 16, v67
	v_add_f16_e32 v100, v31, v18
	v_sub_f16_e32 v109, v31, v18
	v_mul_f16_e32 v103, v91, v37
	v_mul_f16_e32 v104, v93, v41
	;; [unrolled: 1-line block ×4, first 2 shown]
	v_fma_f16 v2, v64, v61, -v92
	v_fmac_f16_e32 v111, v91, v74
	v_fma_f16 v113, v71, v70, -v113
	v_mul_f16_e32 v71, v3, v1
	v_mul_f16_e32 v118, v115, v1
	v_mul_f16_e32 v1, v110, v4
	v_mul_f16_e32 v48, v45, v48
	v_fmac_f16_e32 v19, v45, v12
	v_fma_f16 v5, v32, v13, -v49
	v_lshrrev_b32_e32 v101, 16, v66
	v_add_f16_e32 v96, v25, v21
	v_sub_f16_e32 v105, v25, v21
	v_mul_f16_e32 v50, 0x3abb, v100
	v_mul_f16_e32 v46, 0xb853, v109
	;; [unrolled: 1-line block ×6, first 2 shown]
	v_fma_f16 v116, v75, v74, -v103
	v_mul_f16_e32 v75, 0xb93d, v100
	v_mul_f16_e32 v92, 0xba0c, v109
	v_fma_f16 v117, v73, v72, -v104
	v_fmac_f16_e32 v112, v93, v72
	v_mul_f16_e32 v104, 0xbbad, v100
	v_mul_f16_e32 v100, 0xb482, v109
	v_fma_f16 v109, v68, v2, -v1
	v_mul_f16_e32 v1, v111, v95
	v_fma_f16 v6, v38, v12, -v48
	v_lshrrev_b32_e32 v108, 16, v65
	v_add_f16_e32 v97, v29, v20
	v_add_f16_e32 v99, v30, v19
	v_sub_f16_e32 v43, v11, v5
	v_sub_f16_e32 v106, v29, v20
	;; [unrolled: 1-line block ×3, first 2 shown]
	v_add_f16_e32 v38, v11, v5
	v_mul_f16_e32 v45, 0xb93d, v96
	v_mul_f16_e32 v37, 0xba0c, v105
	;; [unrolled: 1-line block ×6, first 2 shown]
	v_fmac_f16_e32 v114, v94, v70
	v_mul_f16_e32 v70, 0xbbad, v96
	v_mul_f16_e32 v73, 0xb482, v105
	;; [unrolled: 1-line block ×5, first 2 shown]
	v_fma_f16 v105, v67, v116, -v1
	v_mul_f16_e32 v1, v112, v101
	v_sub_f16_e32 v40, v8, v6
	v_add_f16_e32 v36, v8, v6
	v_mul_f16_e32 v47, 0xb08e, v97
	v_mul_f16_e32 v48, 0x36a6, v99
	;; [unrolled: 1-line block ×16, first 2 shown]
	v_fmac_f16_e32 v118, v69, v3
	v_mul_f16_e32 v103, 0x3abb, v99
	v_mul_f16_e32 v99, 0x3853, v107
	;; [unrolled: 1-line block ×4, first 2 shown]
	v_fmac_f16_e32 v4, v68, v110
	v_mul_f16_e32 v107, v116, v95
	v_fmamk_f16 v3, v43, 0x3853, v50
	v_mul_f16_e32 v106, v117, v101
	v_fmamk_f16 v110, v38, 0x3abb, v46
	v_fma_f16 v68, v66, v117, -v1
	v_mul_f16_e32 v1, v114, v108
	v_sub_f16_e32 v39, v15, v7
	v_add_f16_e32 v32, v15, v7
	v_fmamk_f16 v2, v40, 0x3b47, v48
	v_fmac_f16_e32 v107, v67, v111
	v_fmamk_f16 v67, v36, 0x36a6, v44
	v_fmac_f16_e32 v106, v66, v112
	v_fmamk_f16 v66, v43, 0x3b47, v60
	v_mul_f16_e32 v101, v113, v108
	v_fma_f16 v95, v65, v113, -v1
	v_fmamk_f16 v1, v38, 0x36a6, v59
	v_add_f16_e32 v3, v3, v24
	v_add_f16_e32 v110, v110, v10
	v_sub_f16_e32 v102, v23, v22
	v_add_f16_e32 v13, v28, v14
	v_fmamk_f16 v108, v40, 0x3a0c, v58
	v_fmac_f16_e32 v101, v65, v114
	v_fmamk_f16 v65, v36, 0xb93d, v57
	v_fmamk_f16 v111, v39, 0x3beb, v47
	v_add_f16_e32 v66, v66, v24
	v_add_f16_e32 v2, v2, v3
	v_fmamk_f16 v3, v32, 0xb08e, v42
	v_add_f16_e32 v1, v1, v10
	v_add_f16_e32 v67, v67, v110
	;; [unrolled: 1-line block ×3, first 2 shown]
	v_sub_f16_e32 v35, v28, v14
	v_add_f16_e32 v12, v27, v26
	v_mul_f16_e32 v34, 0xb482, v102
	v_fmamk_f16 v110, v39, 0xb482, v56
	v_add_f16_e32 v66, v108, v66
	v_fmamk_f16 v108, v32, 0xbbad, v55
	v_add_f16_e32 v1, v65, v1
	v_add_f16_e32 v2, v111, v2
	v_fmamk_f16 v111, v13, 0xb93d, v37
	v_add_f16_e32 v3, v3, v67
	v_sub_f16_e32 v33, v27, v26
	v_mul_f16_e32 v41, 0xbbad, v98
	v_mul_f16_e32 v49, 0x3abb, v98
	v_mul_f16_e32 v52, 0x3853, v102
	v_fmamk_f16 v65, v35, 0x3a0c, v45
	v_fmamk_f16 v67, v35, 0xbbeb, v54
	v_add_f16_e32 v66, v110, v66
	v_fmamk_f16 v110, v13, 0xb08e, v53
	v_add_f16_e32 v1, v108, v1
	;; [unrolled: 2-line block ×6, first 2 shown]
	v_add_f16_e32 v3, v67, v66
	v_add_f16_e32 v2, v111, v2
	v_fma_f16 v115, v69, v115, -v71
	v_add_f16_e32 v66, v110, v1
	v_fmamk_f16 v112, v43, 0x3beb, v87
	v_add_f16_e32 v65, v65, v3
	v_mul_f16_e32 v1, v108, v118
	v_fmamk_f16 v67, v38, 0xb08e, v89
	v_mul_f16_e32 v110, v2, v118
	v_mul_f16_e32 v3, v66, v4
	;; [unrolled: 1-line block ×3, first 2 shown]
	v_fmamk_f16 v111, v40, 0xb482, v85
	v_fmamk_f16 v113, v36, 0xbbad, v88
	v_fmac_f16_e32 v1, v2, v115
	v_fma_f16 v2, v108, v115, -v110
	v_fmamk_f16 v108, v43, 0x3a0c, v75
	v_fmac_f16_e32 v3, v65, v109
	v_fmamk_f16 v65, v38, 0xb93d, v92
	v_add_f16_e32 v112, v112, v24
	v_fma_f16 v4, v66, v109, -v4
	v_add_f16_e32 v67, v67, v10
	v_fmamk_f16 v109, v43, 0x3482, v104
	v_fmamk_f16 v110, v40, 0xbbeb, v74
	v_fmamk_f16 v66, v36, 0xb08e, v91
	v_add_f16_e32 v111, v111, v112
	v_fmamk_f16 v112, v40, 0xb853, v103
	v_add_f16_e32 v108, v108, v24
	v_add_f16_e32 v67, v113, v67
	v_fmamk_f16 v113, v38, 0xbbad, v100
	v_add_f16_e32 v65, v65, v10
	v_add_f16_e32 v109, v109, v24
	;; [unrolled: 1-line block ×3, first 2 shown]
	v_fmamk_f16 v110, v36, 0x3abb, v99
	v_add_f16_e32 v113, v113, v10
	v_add_f16_e32 v65, v66, v65
	v_fmamk_f16 v66, v39, 0xbb47, v63
	v_add_f16_e32 v109, v112, v109
	v_fmamk_f16 v112, v32, 0x36a6, v86
	;; [unrolled: 2-line block ×5, first 2 shown]
	v_mul_f16_e32 v64, 0xba0c, v102
	v_mul_f16_e32 v61, 0xb93d, v98
	v_add_f16_e32 v108, v113, v108
	v_fmamk_f16 v113, v32, 0xb93d, v97
	v_add_f16_e32 v111, v111, v65
	v_fmamk_f16 v65, v35, 0x3853, v62
	;; [unrolled: 2-line block ×3, first 2 shown]
	v_fmamk_f16 v114, v35, 0x3482, v70
	v_fmamk_f16 v115, v13, 0xbbad, v73
	v_mul_f16_e32 v71, 0x3b47, v102
	v_mul_f16_e32 v69, 0x36a6, v98
	v_add_f16_e32 v113, v113, v110
	v_add_f16_e32 v65, v65, v66
	;; [unrolled: 1-line block ×3, first 2 shown]
	v_fmamk_f16 v116, v35, 0xbb47, v93
	v_add_f16_e32 v66, v114, v108
	v_fmamk_f16 v114, v13, 0x36a6, v96
	v_add_f16_e32 v67, v115, v111
	v_fmamk_f16 v112, v12, 0xb93d, v64
	v_fmamk_f16 v111, v33, 0x3a0c, v61
	v_add_f16_e32 v108, v116, v109
	v_add_f16_e32 v109, v114, v113
	v_fmamk_f16 v114, v33, 0xbb47, v69
	v_add_f16_e32 v110, v112, v110
	v_fmamk_f16 v112, v12, 0x36a6, v71
	v_add_f16_e32 v111, v111, v65
	v_add_nc_u32_e32 v113, 22, v17
	v_add_f16_e32 v114, v114, v66
	v_mul_f16_e32 v65, v110, v107
	v_add_f16_e32 v112, v112, v67
	v_mul_f16_e32 v66, v111, v107
	v_mul_f16_e32 v115, 0xb08e, v98
	;; [unrolled: 1-line block ×3, first 2 shown]
	v_mul_lo_u32 v113, v9, v113
	v_fmac_f16_e32 v65, v111, v105
	v_fma_f16 v66, v110, v105, -v66
	v_mul_f16_e32 v67, v112, v106
	v_mul_f16_e32 v105, v114, v106
	v_fmamk_f16 v106, v33, 0x3beb, v115
	v_fmamk_f16 v98, v12, 0xb08e, v102
	v_fmac_f16_e32 v104, 0xb482, v43
	v_fmac_f16_e32 v67, v114, v68
	v_fma_f16 v68, v112, v68, -v105
	v_add_f16_e32 v105, v106, v108
	v_add_nc_u32_e32 v108, 11, v17
	s_wait_loadcnt 0x8
	v_lshrrev_b32_e32 v107, 16, v84
	v_add_f16_e32 v109, v98, v109
	s_wait_loadcnt 0x7
	v_lshrrev_b32_e32 v98, 16, v80
	v_and_b32_e32 v110, 0xff, v113
	v_fmac_f16_e32 v103, 0x3853, v40
	v_add_f16_e32 v104, v104, v24
	v_lshrrev_b32_e32 v111, 6, v113
	v_mul_lo_u32 v108, v9, v108
	v_mul_lo_u32 v9, v9, v17
	v_mul_f16_e32 v106, v107, v98
	v_mul_f16_e32 v112, v84, v98
	v_lshlrev_b32_e32 v98, 2, v110
	v_add_f16_e32 v103, v103, v104
	v_and_b32_e32 v104, 0x3fc, v111
	s_clause 0x1
	global_load_b32 v114, v98, s[8:9]
	global_load_b32 v104, v104, s[8:9] offset:1024
	v_lshrrev_b32_e32 v110, 6, v108
	v_lshrrev_b32_e32 v111, 14, v9
	v_fma_f16 v84, v84, v80, -v106
	v_lshrrev_b32_e32 v106, 14, v113
	v_lshrrev_b32_e32 v113, 14, v108
	v_and_b32_e32 v98, 0x3fc, v110
	v_and_b32_e32 v110, 0x3fc, v111
	v_fma_f16 v100, v38, 0xbbad, -v100
	v_and_b32_e32 v106, 0x3fc, v106
	v_and_b32_e32 v111, 0x3fc, v113
	s_clause 0x3
	global_load_b32 v113, v98, s[8:9] offset:1024
	global_load_b32 v98, v110, s[8:9] offset:2048
	;; [unrolled: 1-line block ×4, first 2 shown]
	v_and_b32_e32 v108, 0xff, v108
	v_fma_f16 v99, v36, 0x3abb, -v99
	v_add_f16_e32 v100, v100, v10
	v_fmac_f16_e32 v94, 0xba0c, v39
	v_fmac_f16_e32 v93, 0x3b47, v35
	v_lshlrev_b32_e32 v108, 2, v108
	v_fma_f16 v96, v13, 0x36a6, -v96
	v_add_f16_e32 v111, v99, v100
	v_and_b32_e32 v99, 0xff, v9
	v_lshrrev_b32_e32 v9, 6, v9
	global_load_b32 v108, v108, s[8:9]
	v_add_f16_e32 v94, v94, v103
	v_fmac_f16_e32 v112, v107, v80
	v_lshlrev_b32_e32 v99, 2, v99
	v_and_b32_e32 v9, 0x3fc, v9
	s_clause 0x1
	global_load_b32 v100, v99, s[8:9]
	global_load_b32 v99, v9, s[8:9] offset:1024
	v_fma_f16 v9, v32, 0xb93d, -v97
	s_wait_loadcnt 0xf
	v_lshrrev_b32_e32 v97, 16, v83
	v_add_f16_e32 v93, v93, v94
	v_fmac_f16_e32 v115, 0xbbeb, v33
	v_fma_f16 v92, v38, 0xb93d, -v92
	v_add_f16_e32 v103, v9, v111
	v_mul_f16_e32 v80, v84, v97
	v_mul_f16_e32 v9, v109, v101
	;; [unrolled: 1-line block ×4, first 2 shown]
	v_add_f16_e32 v94, v96, v103
	v_fma_f16 v96, v12, 0xb08e, -v102
	v_fmac_f16_e32 v80, v83, v112
	v_add_f16_e32 v93, v115, v93
	v_fmac_f16_e32 v9, v105, v95
	v_fma_f16 v84, v83, v84, -v97
	v_add_f16_e32 v94, v96, v94
	s_wait_loadcnt 0xe
	v_lshrrev_b32_e32 v96, 16, v81
	v_mul_f16_e32 v97, v93, v80
	s_wait_loadcnt 0xa
	v_lshrrev_b32_e32 v102, 16, v82
	v_fmac_f16_e32 v75, 0xba0c, v43
	v_mul_f16_e32 v83, v94, v80
	v_fma_f16 v80, v109, v95, -v101
	v_mul_f16_e32 v95, v82, v96
	v_fma_f16 v91, v36, 0xb08e, -v91
	v_add_f16_e32 v92, v92, v10
	v_fmac_f16_e32 v83, v93, v84
	v_fma_f16 v84, v94, v84, -v97
	v_mul_f16_e32 v93, v102, v96
	v_fmac_f16_e32 v95, v102, v81
	s_wait_loadcnt 0x9
	v_lshrrev_b32_e32 v94, 16, v79
	v_fmac_f16_e32 v74, 0x3beb, v40
	v_add_f16_e32 v75, v75, v24
	v_fma_f16 v81, v82, v81, -v93
	v_add_f16_e32 v91, v91, v92
	v_mul_f16_e32 v82, v95, v94
	v_fma_f16 v90, v32, 0x3abb, -v90
	v_add_f16_e32 v74, v74, v75
	v_mul_f16_e32 v92, v81, v94
	v_fmac_f16_e32 v72, 0xb853, v39
	v_fma_f16 v81, v79, v81, -v82
	v_add_f16_e32 v75, v90, v91
	v_fma_f16 v73, v13, 0xbbad, -v73
	v_lshrrev_b32_e32 v82, 16, v78
	v_lshrrev_b32_e32 v90, 16, v77
	v_add_f16_e32 v72, v72, v74
	v_fma_f16 v71, v12, 0x36a6, -v71
	v_add_f16_e32 v73, v73, v75
	v_fmac_f16_e32 v70, 0xb482, v35
	v_mul_f16_e32 v74, v82, v90
	v_fma_f16 v59, v38, 0x36a6, -v59
	v_fmac_f16_e32 v60, 0xbb47, v43
	v_add_f16_e32 v71, v71, v73
	v_add_f16_e32 v70, v70, v72
	v_fma_f16 v73, v78, v77, -v74
	v_fma_f16 v74, v38, 0xb08e, -v89
	;; [unrolled: 1-line block ×3, first 2 shown]
	v_mul_f16_e32 v72, v78, v90
	v_fmac_f16_e32 v87, 0xbbeb, v43
	v_fma_f16 v75, v36, 0xbbad, -v88
	v_add_f16_e32 v74, v74, v10
	v_fma_f16 v57, v36, 0xb93d, -v57
	v_fmac_f16_e32 v50, 0xb853, v43
	v_fma_f16 v36, v36, 0x36a6, -v44
	v_add_f16_e32 v38, v38, v10
	v_fmac_f16_e32 v58, 0xba0c, v40
	v_add_f16_e32 v60, v60, v24
	v_fmac_f16_e32 v72, v82, v77
	v_fmac_f16_e32 v85, 0x3482, v40
	v_add_f16_e32 v77, v87, v24
	v_add_f16_e32 v74, v75, v74
	v_fma_f16 v75, v32, 0x36a6, -v86
	v_add_f16_e32 v59, v59, v10
	v_fma_f16 v55, v32, 0xbbad, -v55
	v_fmac_f16_e32 v48, 0xbb47, v40
	v_add_f16_e32 v40, v50, v24
	v_fma_f16 v32, v32, 0xb08e, -v42
	v_add_f16_e32 v24, v31, v24
	v_add_f16_e32 v31, v36, v38
	;; [unrolled: 1-line block ×3, first 2 shown]
	v_fmac_f16_e32 v56, 0x3482, v39
	v_add_f16_e32 v58, v58, v60
	v_fma_f16 v76, v13, 0x3abb, -v76
	v_fma_f16 v53, v13, 0xb08e, -v53
	;; [unrolled: 1-line block ×3, first 2 shown]
	v_add_f16_e32 v13, v24, v30
	v_add_f16_e32 v24, v32, v31
	;; [unrolled: 1-line block ×3, first 2 shown]
	v_fmac_f16_e32 v54, 0x3beb, v35
	v_add_f16_e32 v56, v56, v58
	v_fma_f16 v64, v12, 0xb93d, -v64
	v_fma_f16 v43, v12, 0x3abb, -v52
	;; [unrolled: 1-line block ×3, first 2 shown]
	v_add_f16_e32 v11, v11, v24
	v_add_f16_e32 v8, v8, v15
	v_and_b32_e32 v15, 0xffff, v0
	v_add_f16_e32 v54, v54, v56
	v_add_f16_e32 v56, v57, v59
	;; [unrolled: 1-line block ×4, first 2 shown]
	v_mul_u32_u24_e32 v12, 0x21e, v15
	v_add_f16_e32 v13, v13, v29
	v_add_f16_e32 v55, v55, v56
	v_fmac_f16_e32 v63, 0x3b47, v39
	v_add_f16_e32 v8, v8, v27
	v_lshrrev_b32_e32 v12, 16, v12
	v_add_f16_e32 v13, v13, v25
	v_add_f16_e32 v52, v53, v55
	v_fmac_f16_e32 v49, 0x3853, v33
	v_add_f16_e32 v8, v8, v26
	v_mul_lo_u16 v12, 0x79, v12
	v_fmac_f16_e32 v47, 0xbbeb, v39
	v_add_f16_e32 v43, v43, v52
	v_add_f16_e32 v39, v48, v40
	;; [unrolled: 1-line block ×4, first 2 shown]
	v_sub_nc_u16 v12, v0, v12
	v_fmac_f16_e32 v69, 0x3b47, v33
	v_fmac_f16_e32 v62, 0xb853, v35
	;; [unrolled: 1-line block ×3, first 2 shown]
	v_add_f16_e32 v40, v49, v54
	v_fmac_f16_e32 v45, 0xba0c, v35
	v_add_f16_e32 v35, v47, v39
	v_fmac_f16_e32 v41, 0xb482, v33
	v_add_f16_e32 v13, v13, v22
	v_add_f16_e32 v7, v8, v7
	v_and_b32_e32 v8, 0xffff, v12
	v_add_f16_e32 v35, v45, v35
	v_add_f16_e32 v77, v85, v77
	v_add_f16_e32 v13, v13, v21
	v_add_f16_e32 v6, v7, v6
	v_sub_nc_u32_e32 v0, v0, v8
	v_add_f16_e32 v35, v41, v35
	v_add_f16_e32 v74, v75, v74
	;; [unrolled: 1-line block ×3, first 2 shown]
	v_lshrrev_b32_e32 v75, 16, v51
	v_add_nc_u32_e32 v17, v0, v17
	v_add_f16_e32 v63, v63, v77
	v_add_f16_e32 v74, v76, v74
	;; [unrolled: 1-line block ×4, first 2 shown]
	v_mad_co_u64_u32 v[5:6], null, s6, v16, 0
	v_mad_co_u64_u32 v[7:8], null, s4, v17, 0
	s_delay_alu instid0(VALU_DEP_4)
	v_add_f16_e32 v18, v13, v18
	v_mul_f16_e32 v76, v73, v75
	v_add_f16_e32 v62, v62, v63
	v_mul_f16_e32 v63, v72, v75
	v_mov_b32_e32 v0, v6
	v_add_f16_e32 v64, v64, v74
	v_mov_b32_e32 v6, v8
	v_fmac_f16_e32 v76, v51, v72
	v_add_f16_e32 v61, v61, v62
	v_fma_f16 v51, v51, v73, -v63
	v_fmac_f16_e32 v92, v79, v95
	v_add_f16_e32 v70, v69, v70
	v_mul_f16_e32 v62, v64, v76
	v_mul_f16_e32 v63, v61, v76
	s_delay_alu instid0(VALU_DEP_4) | instskip(NEXT) | instid1(VALU_DEP_3)
	v_mul_f16_e32 v69, v71, v92
	v_fmac_f16_e32 v62, v61, v51
	s_delay_alu instid0(VALU_DEP_3) | instskip(NEXT) | instid1(VALU_DEP_3)
	v_fma_f16 v51, v64, v51, -v63
	v_fmac_f16_e32 v69, v70, v81
	v_mul_f16_e32 v70, v70, v92
	s_delay_alu instid0(VALU_DEP_1) | instskip(SKIP_4) | instid1(VALU_DEP_1)
	v_fma_f16 v70, v71, v81, -v70
	s_wait_loadcnt 0x8
	v_lshrrev_b32_e32 v58, 16, v114
	s_wait_loadcnt 0x7
	v_lshrrev_b32_e32 v60, 16, v104
	v_mul_f16_e32 v57, v58, v60
	v_mul_f16_e32 v59, v114, v60
	s_delay_alu instid0(VALU_DEP_2) | instskip(NEXT) | instid1(VALU_DEP_2)
	v_fma_f16 v56, v114, v104, -v57
	v_fmac_f16_e32 v59, v58, v104
	s_wait_loadcnt 0x6
	v_lshrrev_b32_e32 v47, 16, v113
	s_wait_loadcnt 0x3
	v_lshrrev_b32_e32 v60, 16, v106
	v_lshrrev_b32_e32 v41, 16, v110
	;; [unrolled: 1-line block ×3, first 2 shown]
	s_delay_alu instid0(VALU_DEP_3) | instskip(SKIP_1) | instid1(VALU_DEP_2)
	v_mul_f16_e32 v53, v56, v60
	v_mul_f16_e32 v50, v59, v60
	v_fmac_f16_e32 v53, v106, v59
	s_delay_alu instid0(VALU_DEP_2) | instskip(SKIP_2) | instid1(VALU_DEP_3)
	v_fma_f16 v48, v106, v56, -v50
	s_wait_loadcnt 0x2
	v_lshrrev_b32_e32 v33, 16, v108
	v_mul_f16_e32 v49, v43, v53
	v_mul_f16_e32 v39, v40, v53
	s_wait_loadcnt 0x1
	v_lshrrev_b32_e32 v15, 16, v100
	s_wait_loadcnt 0x0
	v_lshrrev_b32_e32 v22, 16, v99
	v_fmac_f16_e32 v49, v40, v48
	v_mul_f16_e32 v40, v33, v47
	v_fma_f16 v39, v43, v48, -v39
	v_mul_f16_e32 v43, v108, v47
	v_mul_f16_e32 v14, v15, v22
	;; [unrolled: 1-line block ×3, first 2 shown]
	v_fma_f16 v40, v108, v113, -v40
	s_delay_alu instid0(VALU_DEP_4) | instskip(NEXT) | instid1(VALU_DEP_4)
	v_fmac_f16_e32 v43, v33, v113
	v_fma_f16 v12, v100, v99, -v14
	s_delay_alu instid0(VALU_DEP_4) | instskip(NEXT) | instid1(VALU_DEP_4)
	v_fmac_f16_e32 v22, v15, v99
	v_mul_f16_e32 v24, v40, v41
	s_delay_alu instid0(VALU_DEP_4) | instskip(NEXT) | instid1(VALU_DEP_4)
	v_mul_f16_e32 v10, v43, v41
	v_mul_f16_e32 v14, v12, v21
	s_delay_alu instid0(VALU_DEP_4) | instskip(NEXT) | instid1(VALU_DEP_4)
	v_mul_f16_e32 v15, v22, v21
	v_fmac_f16_e32 v24, v110, v43
	s_delay_alu instid0(VALU_DEP_4) | instskip(NEXT) | instid1(VALU_DEP_4)
	v_fma_f16 v10, v110, v40, -v10
	v_fmac_f16_e32 v14, v98, v22
	v_add_nc_u32_e32 v22, 11, v17
	s_delay_alu instid0(VALU_DEP_4)
	v_mul_f16_e32 v23, v11, v24
	v_mul_f16_e32 v24, v35, v24
	v_fma_f16 v15, v98, v12, -v15
	v_mul_f16_e32 v21, v19, v14
	v_mul_f16_e32 v14, v18, v14
	v_fmac_f16_e32 v23, v35, v10
	v_fma_f16 v20, v11, v10, -v24
	v_mad_co_u64_u32 v[10:11], null, s7, v16, v[0:1]
	v_mad_co_u64_u32 v[11:12], null, s5, v17, v[6:7]
	;; [unrolled: 1-line block ×3, first 2 shown]
	v_fmac_f16_e32 v21, v18, v15
	v_add_nc_u32_e32 v18, 22, v17
	v_mov_b32_e32 v6, v10
	v_fma_f16 v16, v19, v15, -v14
	v_dual_mov_b32 v8, v11 :: v_dual_add_nc_u32 v19, 33, v17
	v_mov_b32_e32 v0, v13
	s_delay_alu instid0(VALU_DEP_4) | instskip(SKIP_2) | instid1(VALU_DEP_4)
	v_lshlrev_b64_e32 v[5:6], 2, v[5:6]
	v_mad_co_u64_u32 v[14:15], null, s4, v18, 0
	v_pack_b32_f16 v16, v16, v21
	v_mad_co_u64_u32 v[10:11], null, s5, v22, v[0:1]
	s_delay_alu instid0(VALU_DEP_4) | instskip(SKIP_3) | instid1(VALU_DEP_4)
	v_add_co_u32 v22, vcc_lo, s0, v5
	s_wait_alu 0xfffd
	v_add_co_ci_u32_e32 v24, vcc_lo, s1, v6, vcc_lo
	v_lshlrev_b64_e32 v[5:6], 2, v[7:8]
	v_dual_mov_b32 v0, v15 :: v_dual_mov_b32 v13, v10
	v_mad_co_u64_u32 v[7:8], null, s4, v19, 0
	v_add_nc_u32_e32 v21, 0x6e, v17
	s_delay_alu instid0(VALU_DEP_4) | instskip(NEXT) | instid1(VALU_DEP_4)
	v_add_co_u32 v5, vcc_lo, v22, v5
	v_lshlrev_b64_e32 v[10:11], 2, v[12:13]
	s_wait_alu 0xfffd
	v_add_co_ci_u32_e32 v6, vcc_lo, v24, v6, vcc_lo
	v_mad_co_u64_u32 v[12:13], null, s5, v18, v[0:1]
	v_mov_b32_e32 v0, v8
	s_delay_alu instid0(VALU_DEP_4)
	v_add_co_u32 v10, vcc_lo, v22, v10
	s_wait_alu 0xfffd
	v_add_co_ci_u32_e32 v11, vcc_lo, v24, v11, vcc_lo
	v_pack_b32_f16 v8, v20, v23
	global_store_b32 v[5:6], v16, off
	v_dual_mov_b32 v15, v12 :: v_dual_add_nc_u32 v16, 44, v17
	v_mad_co_u64_u32 v[12:13], null, s5, v19, v[0:1]
	global_store_b32 v[10:11], v8, off
	v_mad_co_u64_u32 v[10:11], null, s4, v16, 0
	v_add_nc_u32_e32 v18, 55, v17
	v_lshlrev_b64_e32 v[5:6], 2, v[14:15]
	v_add_nc_u32_e32 v20, 0x42, v17
	v_mov_b32_e32 v8, v12
	v_pack_b32_f16 v19, v39, v49
	v_mad_co_u64_u32 v[12:13], null, s4, v18, 0
	v_mov_b32_e32 v0, v11
	s_delay_alu instid0(VALU_DEP_4)
	v_lshlrev_b64_e32 v[7:8], 2, v[7:8]
	v_add_co_u32 v5, vcc_lo, v22, v5
	s_wait_alu 0xfffd
	v_add_co_ci_u32_e32 v6, vcc_lo, v24, v6, vcc_lo
	v_mad_co_u64_u32 v[14:15], null, s5, v16, v[0:1]
	v_mov_b32_e32 v0, v13
	v_add_co_u32 v7, vcc_lo, v22, v7
	s_wait_alu 0xfffd
	v_add_co_ci_u32_e32 v8, vcc_lo, v24, v8, vcc_lo
	v_pack_b32_f16 v16, v51, v62
	v_mov_b32_e32 v11, v14
	v_mad_co_u64_u32 v[13:14], null, s5, v18, v[0:1]
	v_mad_co_u64_u32 v[14:15], null, s4, v20, 0
	global_store_b32 v[5:6], v19, off
	v_lshlrev_b64_e32 v[5:6], 2, v[10:11]
	global_store_b32 v[7:8], v16, off
	v_add_nc_u32_e32 v16, 0x4d, v17
	v_lshlrev_b64_e32 v[7:8], 2, v[12:13]
	v_pack_b32_f16 v13, v70, v69
	v_mov_b32_e32 v0, v15
	v_add_co_u32 v5, vcc_lo, v22, v5
	s_wait_alu 0xfffd
	v_add_co_ci_u32_e32 v6, vcc_lo, v24, v6, vcc_lo
	s_delay_alu instid0(VALU_DEP_3)
	v_mad_co_u64_u32 v[10:11], null, s5, v20, v[0:1]
	v_mad_co_u64_u32 v[11:12], null, s4, v16, 0
	v_add_co_u32 v7, vcc_lo, v22, v7
	v_add_nc_u32_e32 v18, 0x58, v17
	s_wait_alu 0xfffd
	v_add_co_ci_u32_e32 v8, vcc_lo, v24, v8, vcc_lo
	v_pack_b32_f16 v0, v84, v83
	v_mov_b32_e32 v15, v10
	v_add_nc_u32_e32 v19, 0x63, v17
	s_clause 0x1
	global_store_b32 v[5:6], v13, off
	global_store_b32 v[7:8], v0, off
	v_mad_co_u64_u32 v[7:8], null, s4, v18, 0
	v_mov_b32_e32 v0, v12
	v_lshlrev_b64_e32 v[5:6], 2, v[14:15]
	v_mad_co_u64_u32 v[13:14], null, s4, v19, 0
	v_pack_b32_f16 v20, v80, v9
	s_delay_alu instid0(VALU_DEP_4)
	v_mad_co_u64_u32 v[9:10], null, s5, v16, v[0:1]
	v_mad_co_u64_u32 v[15:16], null, s4, v21, 0
	v_mov_b32_e32 v0, v8
	v_mov_b32_e32 v8, v14
	v_add_co_u32 v5, vcc_lo, v22, v5
	s_wait_alu 0xfffd
	v_add_co_ci_u32_e32 v6, vcc_lo, v24, v6, vcc_lo
	v_mad_co_u64_u32 v[17:18], null, s5, v18, v[0:1]
	v_mov_b32_e32 v0, v16
	v_mad_co_u64_u32 v[18:19], null, s5, v19, v[8:9]
	v_mov_b32_e32 v12, v9
	global_store_b32 v[5:6], v20, off
	v_mad_co_u64_u32 v[9:10], null, s5, v21, v[0:1]
	v_mov_b32_e32 v8, v17
	v_lshlrev_b64_e32 v[5:6], 2, v[11:12]
	v_mov_b32_e32 v14, v18
	v_pack_b32_f16 v0, v68, v67
	v_pack_b32_f16 v1, v2, v1
	v_lshlrev_b64_e32 v[7:8], 2, v[7:8]
	v_mov_b32_e32 v16, v9
	v_add_co_u32 v5, vcc_lo, v22, v5
	v_lshlrev_b64_e32 v[10:11], 2, v[13:14]
	s_wait_alu 0xfffd
	v_add_co_ci_u32_e32 v6, vcc_lo, v24, v6, vcc_lo
	v_add_co_u32 v7, vcc_lo, v22, v7
	v_lshlrev_b64_e32 v[12:13], 2, v[15:16]
	s_wait_alu 0xfffd
	v_add_co_ci_u32_e32 v8, vcc_lo, v24, v8, vcc_lo
	v_add_co_u32 v9, vcc_lo, v22, v10
	s_wait_alu 0xfffd
	v_add_co_ci_u32_e32 v10, vcc_lo, v24, v11, vcc_lo
	v_pack_b32_f16 v14, v66, v65
	v_pack_b32_f16 v11, v4, v3
	v_add_co_u32 v3, vcc_lo, v22, v12
	s_wait_alu 0xfffd
	v_add_co_ci_u32_e32 v4, vcc_lo, v24, v13, vcc_lo
	s_clause 0x3
	global_store_b32 v[5:6], v0, off
	global_store_b32 v[7:8], v14, off
	;; [unrolled: 1-line block ×4, first 2 shown]
.LBB0_16:
	s_nop 0
	s_sendmsg sendmsg(MSG_DEALLOC_VGPRS)
	s_endpgm
	.section	.rodata,"a",@progbits
	.p2align	6, 0x0
	.amdhsa_kernel fft_rtc_fwd_len121_factors_11_11_wgs_121_tpt_11_half_ip_CI_sbcc_twdbase8_3step_dirReg
		.amdhsa_group_segment_fixed_size 0
		.amdhsa_private_segment_fixed_size 0
		.amdhsa_kernarg_size 96
		.amdhsa_user_sgpr_count 2
		.amdhsa_user_sgpr_dispatch_ptr 0
		.amdhsa_user_sgpr_queue_ptr 0
		.amdhsa_user_sgpr_kernarg_segment_ptr 1
		.amdhsa_user_sgpr_dispatch_id 0
		.amdhsa_user_sgpr_private_segment_size 0
		.amdhsa_wavefront_size32 1
		.amdhsa_uses_dynamic_stack 0
		.amdhsa_enable_private_segment 0
		.amdhsa_system_sgpr_workgroup_id_x 1
		.amdhsa_system_sgpr_workgroup_id_y 0
		.amdhsa_system_sgpr_workgroup_id_z 0
		.amdhsa_system_sgpr_workgroup_info 0
		.amdhsa_system_vgpr_workitem_id 0
		.amdhsa_next_free_vgpr 119
		.amdhsa_next_free_sgpr 51
		.amdhsa_reserve_vcc 1
		.amdhsa_float_round_mode_32 0
		.amdhsa_float_round_mode_16_64 0
		.amdhsa_float_denorm_mode_32 3
		.amdhsa_float_denorm_mode_16_64 3
		.amdhsa_fp16_overflow 0
		.amdhsa_workgroup_processor_mode 1
		.amdhsa_memory_ordered 1
		.amdhsa_forward_progress 0
		.amdhsa_round_robin_scheduling 0
		.amdhsa_exception_fp_ieee_invalid_op 0
		.amdhsa_exception_fp_denorm_src 0
		.amdhsa_exception_fp_ieee_div_zero 0
		.amdhsa_exception_fp_ieee_overflow 0
		.amdhsa_exception_fp_ieee_underflow 0
		.amdhsa_exception_fp_ieee_inexact 0
		.amdhsa_exception_int_div_zero 0
	.end_amdhsa_kernel
	.text
.Lfunc_end0:
	.size	fft_rtc_fwd_len121_factors_11_11_wgs_121_tpt_11_half_ip_CI_sbcc_twdbase8_3step_dirReg, .Lfunc_end0-fft_rtc_fwd_len121_factors_11_11_wgs_121_tpt_11_half_ip_CI_sbcc_twdbase8_3step_dirReg
                                        ; -- End function
	.section	.AMDGPU.csdata,"",@progbits
; Kernel info:
; codeLenInByte = 9820
; NumSgprs: 53
; NumVgprs: 119
; ScratchSize: 0
; MemoryBound: 0
; FloatMode: 240
; IeeeMode: 1
; LDSByteSize: 0 bytes/workgroup (compile time only)
; SGPRBlocks: 6
; VGPRBlocks: 14
; NumSGPRsForWavesPerEU: 53
; NumVGPRsForWavesPerEU: 119
; Occupancy: 12
; WaveLimiterHint : 1
; COMPUTE_PGM_RSRC2:SCRATCH_EN: 0
; COMPUTE_PGM_RSRC2:USER_SGPR: 2
; COMPUTE_PGM_RSRC2:TRAP_HANDLER: 0
; COMPUTE_PGM_RSRC2:TGID_X_EN: 1
; COMPUTE_PGM_RSRC2:TGID_Y_EN: 0
; COMPUTE_PGM_RSRC2:TGID_Z_EN: 0
; COMPUTE_PGM_RSRC2:TIDIG_COMP_CNT: 0
	.text
	.p2alignl 7, 3214868480
	.fill 96, 4, 3214868480
	.type	__hip_cuid_9876ed61f7597820,@object ; @__hip_cuid_9876ed61f7597820
	.section	.bss,"aw",@nobits
	.globl	__hip_cuid_9876ed61f7597820
__hip_cuid_9876ed61f7597820:
	.byte	0                               ; 0x0
	.size	__hip_cuid_9876ed61f7597820, 1

	.ident	"AMD clang version 19.0.0git (https://github.com/RadeonOpenCompute/llvm-project roc-6.4.0 25133 c7fe45cf4b819c5991fe208aaa96edf142730f1d)"
	.section	".note.GNU-stack","",@progbits
	.addrsig
	.addrsig_sym __hip_cuid_9876ed61f7597820
	.amdgpu_metadata
---
amdhsa.kernels:
  - .args:
      - .actual_access:  read_only
        .address_space:  global
        .offset:         0
        .size:           8
        .value_kind:     global_buffer
      - .address_space:  global
        .offset:         8
        .size:           8
        .value_kind:     global_buffer
      - .offset:         16
        .size:           8
        .value_kind:     by_value
      - .actual_access:  read_only
        .address_space:  global
        .offset:         24
        .size:           8
        .value_kind:     global_buffer
      - .actual_access:  read_only
        .address_space:  global
        .offset:         32
        .size:           8
        .value_kind:     global_buffer
      - .offset:         40
        .size:           8
        .value_kind:     by_value
      - .actual_access:  read_only
        .address_space:  global
        .offset:         48
        .size:           8
        .value_kind:     global_buffer
      - .actual_access:  read_only
        .address_space:  global
        .offset:         56
        .size:           8
        .value_kind:     global_buffer
      - .offset:         64
        .size:           4
        .value_kind:     by_value
      - .actual_access:  read_only
        .address_space:  global
        .offset:         72
        .size:           8
        .value_kind:     global_buffer
      - .actual_access:  read_only
        .address_space:  global
        .offset:         80
        .size:           8
        .value_kind:     global_buffer
      - .address_space:  global
        .offset:         88
        .size:           8
        .value_kind:     global_buffer
    .group_segment_fixed_size: 0
    .kernarg_segment_align: 8
    .kernarg_segment_size: 96
    .language:       OpenCL C
    .language_version:
      - 2
      - 0
    .max_flat_workgroup_size: 121
    .name:           fft_rtc_fwd_len121_factors_11_11_wgs_121_tpt_11_half_ip_CI_sbcc_twdbase8_3step_dirReg
    .private_segment_fixed_size: 0
    .sgpr_count:     53
    .sgpr_spill_count: 0
    .symbol:         fft_rtc_fwd_len121_factors_11_11_wgs_121_tpt_11_half_ip_CI_sbcc_twdbase8_3step_dirReg.kd
    .uniform_work_group_size: 1
    .uses_dynamic_stack: false
    .vgpr_count:     119
    .vgpr_spill_count: 0
    .wavefront_size: 32
    .workgroup_processor_mode: 1
amdhsa.target:   amdgcn-amd-amdhsa--gfx1201
amdhsa.version:
  - 1
  - 2
...

	.end_amdgpu_metadata
